;; amdgpu-corpus repo=ROCm/rocFFT kind=compiled arch=gfx950 opt=O3
	.text
	.amdgcn_target "amdgcn-amd-amdhsa--gfx950"
	.amdhsa_code_object_version 6
	.protected	fft_rtc_fwd_len520_factors_13_10_4_wgs_52_tpt_52_dp_op_CI_CI_unitstride_sbrr_C2R_dirReg ; -- Begin function fft_rtc_fwd_len520_factors_13_10_4_wgs_52_tpt_52_dp_op_CI_CI_unitstride_sbrr_C2R_dirReg
	.globl	fft_rtc_fwd_len520_factors_13_10_4_wgs_52_tpt_52_dp_op_CI_CI_unitstride_sbrr_C2R_dirReg
	.p2align	8
	.type	fft_rtc_fwd_len520_factors_13_10_4_wgs_52_tpt_52_dp_op_CI_CI_unitstride_sbrr_C2R_dirReg,@function
fft_rtc_fwd_len520_factors_13_10_4_wgs_52_tpt_52_dp_op_CI_CI_unitstride_sbrr_C2R_dirReg: ; @fft_rtc_fwd_len520_factors_13_10_4_wgs_52_tpt_52_dp_op_CI_CI_unitstride_sbrr_C2R_dirReg
; %bb.0:
	s_load_dwordx4 s[4:7], s[0:1], 0x58
	s_load_dwordx4 s[8:11], s[0:1], 0x0
	;; [unrolled: 1-line block ×3, first 2 shown]
	v_mul_u32_u24_e32 v1, 0x4ed, v0
	v_add_u32_sdwa v6, s2, v1 dst_sel:DWORD dst_unused:UNUSED_PAD src0_sel:DWORD src1_sel:WORD_1
	v_mov_b32_e32 v4, 0
	s_waitcnt lgkmcnt(0)
	v_cmp_lt_u64_e64 s[2:3], s[10:11], 2
	v_mov_b32_e32 v7, v4
	s_and_b64 vcc, exec, s[2:3]
	v_mov_b64_e32 v[2:3], 0
	s_cbranch_vccnz .LBB0_8
; %bb.1:
	s_load_dwordx2 s[2:3], s[0:1], 0x10
	s_add_u32 s16, s14, 8
	s_addc_u32 s17, s15, 0
	s_add_u32 s18, s12, 8
	s_addc_u32 s19, s13, 0
	s_waitcnt lgkmcnt(0)
	s_add_u32 s20, s2, 8
	v_mov_b64_e32 v[2:3], 0
	s_addc_u32 s21, s3, 0
	s_mov_b64 s[22:23], 1
	v_mov_b64_e32 v[80:81], v[2:3]
.LBB0_2:                                ; =>This Inner Loop Header: Depth=1
	s_load_dwordx2 s[24:25], s[20:21], 0x0
                                        ; implicit-def: $vgpr82_vgpr83
	s_waitcnt lgkmcnt(0)
	v_or_b32_e32 v5, s25, v7
	v_cmp_ne_u64_e32 vcc, 0, v[4:5]
	s_and_saveexec_b64 s[2:3], vcc
	s_xor_b64 s[26:27], exec, s[2:3]
	s_cbranch_execz .LBB0_4
; %bb.3:                                ;   in Loop: Header=BB0_2 Depth=1
	v_cvt_f32_u32_e32 v1, s24
	v_cvt_f32_u32_e32 v5, s25
	s_sub_u32 s2, 0, s24
	s_subb_u32 s3, 0, s25
	v_fmac_f32_e32 v1, 0x4f800000, v5
	v_rcp_f32_e32 v1, v1
	s_nop 0
	v_mul_f32_e32 v1, 0x5f7ffffc, v1
	v_mul_f32_e32 v5, 0x2f800000, v1
	v_trunc_f32_e32 v5, v5
	v_fmac_f32_e32 v1, 0xcf800000, v5
	v_cvt_u32_f32_e32 v5, v5
	v_cvt_u32_f32_e32 v1, v1
	v_mul_lo_u32 v8, s2, v5
	v_mul_hi_u32 v10, s2, v1
	v_mul_lo_u32 v9, s3, v1
	v_add_u32_e32 v10, v10, v8
	v_mul_lo_u32 v12, s2, v1
	v_add_u32_e32 v13, v10, v9
	v_mul_hi_u32 v8, v1, v12
	v_mul_hi_u32 v11, v1, v13
	v_mul_lo_u32 v10, v1, v13
	v_mov_b32_e32 v9, v4
	v_lshl_add_u64 v[8:9], v[8:9], 0, v[10:11]
	v_mul_hi_u32 v11, v5, v12
	v_mul_lo_u32 v12, v5, v12
	v_add_co_u32_e32 v8, vcc, v8, v12
	v_mul_hi_u32 v10, v5, v13
	s_nop 0
	v_addc_co_u32_e32 v8, vcc, v9, v11, vcc
	v_mov_b32_e32 v9, v4
	s_nop 0
	v_addc_co_u32_e32 v11, vcc, 0, v10, vcc
	v_mul_lo_u32 v10, v5, v13
	v_lshl_add_u64 v[8:9], v[8:9], 0, v[10:11]
	v_add_co_u32_e32 v1, vcc, v1, v8
	v_mul_lo_u32 v10, s2, v1
	s_nop 0
	v_addc_co_u32_e32 v5, vcc, v5, v9, vcc
	v_mul_lo_u32 v8, s2, v5
	v_mul_hi_u32 v9, s2, v1
	v_add_u32_e32 v8, v9, v8
	v_mul_lo_u32 v9, s3, v1
	v_add_u32_e32 v12, v8, v9
	v_mul_hi_u32 v14, v5, v10
	v_mul_lo_u32 v15, v5, v10
	v_mul_hi_u32 v9, v1, v12
	v_mul_lo_u32 v8, v1, v12
	v_mul_hi_u32 v10, v1, v10
	v_mov_b32_e32 v11, v4
	v_lshl_add_u64 v[8:9], v[10:11], 0, v[8:9]
	v_add_co_u32_e32 v8, vcc, v8, v15
	v_mul_hi_u32 v13, v5, v12
	s_nop 0
	v_addc_co_u32_e32 v8, vcc, v9, v14, vcc
	v_mul_lo_u32 v10, v5, v12
	s_nop 0
	v_addc_co_u32_e32 v11, vcc, 0, v13, vcc
	v_mov_b32_e32 v9, v4
	v_lshl_add_u64 v[8:9], v[8:9], 0, v[10:11]
	v_add_co_u32_e32 v1, vcc, v1, v8
	v_mul_hi_u32 v10, v6, v1
	s_nop 0
	v_addc_co_u32_e32 v5, vcc, v5, v9, vcc
	v_mad_u64_u32 v[8:9], s[2:3], v6, v5, 0
	v_mov_b32_e32 v11, v4
	v_lshl_add_u64 v[8:9], v[10:11], 0, v[8:9]
	v_mad_u64_u32 v[12:13], s[2:3], v7, v1, 0
	v_add_co_u32_e32 v1, vcc, v8, v12
	v_mad_u64_u32 v[10:11], s[2:3], v7, v5, 0
	s_nop 0
	v_addc_co_u32_e32 v8, vcc, v9, v13, vcc
	v_mov_b32_e32 v9, v4
	s_nop 0
	v_addc_co_u32_e32 v11, vcc, 0, v11, vcc
	v_lshl_add_u64 v[8:9], v[8:9], 0, v[10:11]
	v_mul_lo_u32 v1, s25, v8
	v_mul_lo_u32 v5, s24, v9
	v_mad_u64_u32 v[10:11], s[2:3], s24, v8, 0
	v_add3_u32 v1, v11, v5, v1
	v_sub_u32_e32 v5, v7, v1
	v_mov_b32_e32 v11, s25
	v_sub_co_u32_e32 v14, vcc, v6, v10
	v_lshl_add_u64 v[12:13], v[8:9], 0, 1
	s_nop 0
	v_subb_co_u32_e64 v5, s[2:3], v5, v11, vcc
	v_subrev_co_u32_e64 v10, s[2:3], s24, v14
	v_subb_co_u32_e32 v1, vcc, v7, v1, vcc
	s_nop 0
	v_subbrev_co_u32_e64 v5, s[2:3], 0, v5, s[2:3]
	v_cmp_le_u32_e64 s[2:3], s25, v5
	v_cmp_le_u32_e32 vcc, s25, v1
	s_nop 0
	v_cndmask_b32_e64 v11, 0, -1, s[2:3]
	v_cmp_le_u32_e64 s[2:3], s24, v10
	s_nop 1
	v_cndmask_b32_e64 v10, 0, -1, s[2:3]
	v_cmp_eq_u32_e64 s[2:3], s25, v5
	s_nop 1
	v_cndmask_b32_e64 v5, v11, v10, s[2:3]
	v_lshl_add_u64 v[10:11], v[8:9], 0, 2
	v_cmp_ne_u32_e64 s[2:3], 0, v5
	s_nop 1
	v_cndmask_b32_e64 v5, v13, v11, s[2:3]
	v_cndmask_b32_e64 v11, 0, -1, vcc
	v_cmp_le_u32_e32 vcc, s24, v14
	s_nop 1
	v_cndmask_b32_e64 v13, 0, -1, vcc
	v_cmp_eq_u32_e32 vcc, s25, v1
	s_nop 1
	v_cndmask_b32_e32 v1, v11, v13, vcc
	v_cmp_ne_u32_e32 vcc, 0, v1
	v_cndmask_b32_e64 v1, v12, v10, s[2:3]
	s_nop 0
	v_cndmask_b32_e32 v83, v9, v5, vcc
	v_cndmask_b32_e32 v82, v8, v1, vcc
.LBB0_4:                                ;   in Loop: Header=BB0_2 Depth=1
	s_andn2_saveexec_b64 s[2:3], s[26:27]
	s_cbranch_execz .LBB0_6
; %bb.5:                                ;   in Loop: Header=BB0_2 Depth=1
	v_cvt_f32_u32_e32 v1, s24
	s_sub_i32 s26, 0, s24
	v_mov_b32_e32 v83, v4
	v_rcp_iflag_f32_e32 v1, v1
	s_nop 0
	v_mul_f32_e32 v1, 0x4f7ffffe, v1
	v_cvt_u32_f32_e32 v1, v1
	v_mul_lo_u32 v5, s26, v1
	v_mul_hi_u32 v5, v1, v5
	v_add_u32_e32 v1, v1, v5
	v_mul_hi_u32 v1, v6, v1
	v_mul_lo_u32 v5, v1, s24
	v_sub_u32_e32 v5, v6, v5
	v_add_u32_e32 v8, 1, v1
	v_subrev_u32_e32 v9, s24, v5
	v_cmp_le_u32_e32 vcc, s24, v5
	s_nop 1
	v_cndmask_b32_e32 v5, v5, v9, vcc
	v_cndmask_b32_e32 v1, v1, v8, vcc
	v_add_u32_e32 v8, 1, v1
	v_cmp_le_u32_e32 vcc, s24, v5
	s_nop 1
	v_cndmask_b32_e32 v82, v1, v8, vcc
.LBB0_6:                                ;   in Loop: Header=BB0_2 Depth=1
	s_or_b64 exec, exec, s[2:3]
	v_mad_u64_u32 v[8:9], s[2:3], v82, s24, 0
	s_load_dwordx2 s[2:3], s[18:19], 0x0
	v_mul_lo_u32 v1, v83, s24
	v_mul_lo_u32 v5, v82, s25
	s_load_dwordx2 s[24:25], s[16:17], 0x0
	s_add_u32 s22, s22, 1
	v_add3_u32 v1, v9, v5, v1
	v_sub_co_u32_e32 v5, vcc, v6, v8
	s_addc_u32 s23, s23, 0
	s_nop 0
	v_subb_co_u32_e32 v1, vcc, v7, v1, vcc
	s_add_u32 s16, s16, 8
	s_waitcnt lgkmcnt(0)
	v_mul_lo_u32 v6, s2, v1
	v_mul_lo_u32 v7, s3, v5
	v_mad_u64_u32 v[2:3], s[2:3], s2, v5, v[2:3]
	s_addc_u32 s17, s17, 0
	v_add3_u32 v3, v7, v3, v6
	v_mul_lo_u32 v1, s24, v1
	v_mul_lo_u32 v6, s25, v5
	v_mad_u64_u32 v[80:81], s[2:3], s24, v5, v[80:81]
	s_add_u32 s18, s18, 8
	v_add3_u32 v81, v6, v81, v1
	s_addc_u32 s19, s19, 0
	v_mov_b64_e32 v[6:7], s[10:11]
	s_add_u32 s20, s20, 8
	v_cmp_ge_u64_e32 vcc, s[22:23], v[6:7]
	s_addc_u32 s21, s21, 0
	s_cbranch_vccnz .LBB0_9
; %bb.7:                                ;   in Loop: Header=BB0_2 Depth=1
	v_mov_b64_e32 v[6:7], v[82:83]
	s_branch .LBB0_2
.LBB0_8:
	v_mov_b64_e32 v[80:81], v[2:3]
	v_mov_b64_e32 v[82:83], v[6:7]
.LBB0_9:
	s_load_dwordx2 s[2:3], s[0:1], 0x28
	s_lshl_b64 s[16:17], s[10:11], 3
	s_add_u32 s10, s14, s16
	s_addc_u32 s11, s15, s17
                                        ; implicit-def: $vgpr84
	s_waitcnt lgkmcnt(0)
	v_cmp_gt_u64_e64 s[0:1], s[2:3], v[82:83]
	v_cmp_le_u64_e32 vcc, s[2:3], v[82:83]
	s_and_saveexec_b64 s[2:3], vcc
	s_xor_b64 s[2:3], exec, s[2:3]
; %bb.10:
	s_mov_b32 s14, 0x4ec4ec5
	v_mul_hi_u32 v1, v0, s14
	v_mul_u32_u24_e32 v1, 52, v1
	v_sub_u32_e32 v84, v0, v1
                                        ; implicit-def: $vgpr0
                                        ; implicit-def: $vgpr2_vgpr3
; %bb.11:
	s_or_saveexec_b64 s[2:3], s[2:3]
	s_load_dwordx2 s[10:11], s[10:11], 0x0
	s_xor_b64 exec, exec, s[2:3]
	s_cbranch_execz .LBB0_15
; %bb.12:
	s_add_u32 s12, s12, s16
	s_addc_u32 s13, s13, s17
	s_load_dwordx2 s[12:13], s[12:13], 0x0
	s_mov_b32 s14, 0x4ec4ec5
	s_waitcnt lgkmcnt(0)
	v_mul_lo_u32 v1, s13, v82
	v_mul_lo_u32 v6, s12, v83
	v_mad_u64_u32 v[4:5], s[12:13], s12, v82, 0
	v_add3_u32 v5, v5, v6, v1
	v_mul_hi_u32 v1, v0, s14
	v_mul_u32_u24_e32 v1, 52, v1
	v_sub_u32_e32 v84, v0, v1
	v_lshl_add_u64 v[0:1], v[4:5], 4, s[4:5]
	v_lshl_add_u64 v[2:3], v[2:3], 4, v[0:1]
	v_lshlrev_b32_e32 v0, 4, v84
	v_mov_b32_e32 v1, 0
	v_lshl_add_u64 v[44:45], v[2:3], 0, v[0:1]
	s_movk_i32 s4, 0x1000
	v_add_co_u32_e32 v46, vcc, s4, v44
	global_load_dwordx4 v[4:7], v[44:45], off
	global_load_dwordx4 v[8:11], v[44:45], off offset:832
	global_load_dwordx4 v[12:15], v[44:45], off offset:1664
	global_load_dwordx4 v[16:19], v[44:45], off offset:2496
	v_addc_co_u32_e32 v47, vcc, 0, v45, vcc
	global_load_dwordx4 v[20:23], v[44:45], off offset:3328
	global_load_dwordx4 v[24:27], v[46:47], off offset:64
	;; [unrolled: 1-line block ×6, first 2 shown]
	v_add_u32_e32 v0, 0, v0
	v_cmp_eq_u32_e32 vcc, 51, v84
	s_waitcnt vmcnt(9)
	ds_write_b128 v0, v[4:7]
	s_waitcnt vmcnt(8)
	ds_write_b128 v0, v[8:11] offset:832
	s_waitcnt vmcnt(7)
	ds_write_b128 v0, v[12:15] offset:1664
	s_waitcnt vmcnt(6)
	ds_write_b128 v0, v[16:19] offset:2496
	s_waitcnt vmcnt(5)
	ds_write_b128 v0, v[20:23] offset:3328
	s_waitcnt vmcnt(4)
	ds_write_b128 v0, v[24:27] offset:4160
	s_waitcnt vmcnt(3)
	ds_write_b128 v0, v[28:31] offset:4992
	s_waitcnt vmcnt(2)
	ds_write_b128 v0, v[32:35] offset:5824
	s_waitcnt vmcnt(1)
	ds_write_b128 v0, v[36:39] offset:6656
	s_waitcnt vmcnt(0)
	ds_write_b128 v0, v[40:43] offset:7488
	s_and_saveexec_b64 s[4:5], vcc
	s_cbranch_execz .LBB0_14
; %bb.13:
	v_add_co_u32_e32 v2, vcc, 0x2000, v2
	v_mov_b32_e32 v84, 51
	s_nop 0
	v_addc_co_u32_e32 v3, vcc, 0, v3, vcc
	global_load_dwordx4 v[2:5], v[2:3], off offset:128
	s_waitcnt vmcnt(0)
	ds_write_b128 v1, v[2:5] offset:8320
.LBB0_14:
	s_or_b64 exec, exec, s[4:5]
.LBB0_15:
	s_or_b64 exec, exec, s[2:3]
	v_lshlrev_b32_e32 v0, 4, v84
	v_add_u32_e32 v182, 0, v0
	s_waitcnt lgkmcnt(0)
	; wave barrier
	s_waitcnt lgkmcnt(0)
	v_sub_u32_e32 v12, 0, v0
	ds_read_b64 v[2:3], v182
	ds_read_b64 v[4:5], v12 offset:8320
	s_add_u32 s2, s8, 0x1fb0
	s_addc_u32 s3, s9, 0
	v_cmp_ne_u32_e32 vcc, 0, v84
	s_waitcnt lgkmcnt(0)
	v_add_f64 v[0:1], v[2:3], v[4:5]
	v_add_f64 v[2:3], v[2:3], -v[4:5]
                                        ; implicit-def: $vgpr4_vgpr5
	s_and_saveexec_b64 s[4:5], vcc
	s_xor_b64 s[4:5], exec, s[4:5]
	s_cbranch_execz .LBB0_17
; %bb.16:
	v_mov_b32_e32 v85, 0
	v_lshl_add_u64 v[4:5], v[84:85], 4, s[2:3]
	global_load_dwordx4 v[4:7], v[4:5], off
	ds_read_b64 v[8:9], v12 offset:8328
	ds_read_b64 v[10:11], v182 offset:8
	s_waitcnt lgkmcnt(0)
	v_add_f64 v[18:19], v[8:9], v[10:11]
	v_add_f64 v[10:11], v[10:11], -v[8:9]
	s_waitcnt vmcnt(0)
	v_fma_f64 v[20:21], v[2:3], v[6:7], v[0:1]
	v_fma_f64 v[8:9], v[18:19], v[6:7], v[10:11]
	v_fma_f64 v[14:15], -v[2:3], v[6:7], v[0:1]
	v_fma_f64 v[16:17], v[18:19], v[6:7], -v[10:11]
	v_fma_f64 v[6:7], -v[18:19], v[4:5], v[20:21]
	v_fmac_f64_e32 v[8:9], v[2:3], v[4:5]
	v_fmac_f64_e32 v[14:15], v[18:19], v[4:5]
	;; [unrolled: 1-line block ×3, first 2 shown]
	ds_write_b128 v182, v[6:9]
	ds_write_b128 v12, v[14:17] offset:8320
	v_mov_b64_e32 v[4:5], v[84:85]
                                        ; implicit-def: $vgpr0_vgpr1
.LBB0_17:
	s_andn2_saveexec_b64 s[4:5], s[4:5]
	s_cbranch_execz .LBB0_19
; %bb.18:
	ds_write_b128 v182, v[0:3]
	v_mov_b32_e32 v4, 0
	ds_read_b128 v[0:3], v4 offset:4160
	s_waitcnt lgkmcnt(0)
	v_add_f64 v[0:1], v[0:1], v[0:1]
	v_mul_f64 v[2:3], v[2:3], -2.0
	ds_write_b128 v4, v[0:3] offset:4160
	v_mov_b64_e32 v[4:5], 0
.LBB0_19:
	s_or_b64 exec, exec, s[4:5]
	v_lshl_add_u64 v[18:19], v[4:5], 4, s[2:3]
	global_load_dwordx4 v[14:17], v[18:19], off offset:832
	global_load_dwordx4 v[8:11], v[18:19], off offset:1664
	global_load_dwordx4 v[0:3], v[18:19], off offset:2496
	global_load_dwordx4 v[4:7], v[18:19], off offset:3328
	ds_read_b128 v[18:21], v182 offset:832
	ds_read_b128 v[22:25], v12 offset:7488
	s_mov_b32 s4, 0x42a4c3d2
	s_mov_b32 s2, 0x1ea71119
	s_mov_b32 s5, 0xbfea55e2
	s_mov_b32 s14, 0x2ef20147
	s_waitcnt lgkmcnt(0)
	v_add_f64 v[26:27], v[18:19], v[22:23]
	v_add_f64 v[28:29], v[24:25], v[20:21]
	v_add_f64 v[30:31], v[18:19], -v[22:23]
	v_add_f64 v[22:23], v[20:21], -v[24:25]
	s_mov_b32 s3, 0x3fe22d96
	s_mov_b32 s12, 0xb2365da1
	;; [unrolled: 1-line block ×26, first 2 shown]
	v_cmp_gt_u32_e32 vcc, 40, v84
	s_waitcnt vmcnt(3)
	v_fma_f64 v[24:25], v[30:31], v[16:17], v[26:27]
	v_fma_f64 v[18:19], v[28:29], v[16:17], v[22:23]
	v_fma_f64 v[20:21], -v[30:31], v[16:17], v[26:27]
	v_fma_f64 v[22:23], v[28:29], v[16:17], -v[22:23]
	v_fma_f64 v[16:17], -v[28:29], v[14:15], v[24:25]
	v_fmac_f64_e32 v[18:19], v[30:31], v[14:15]
	v_fmac_f64_e32 v[20:21], v[28:29], v[14:15]
	v_fmac_f64_e32 v[22:23], v[30:31], v[14:15]
	ds_write_b128 v182, v[16:19] offset:832
	ds_write_b128 v12, v[20:23] offset:7488
	ds_read_b128 v[14:17], v182 offset:1664
	ds_read_b128 v[18:21], v12 offset:6656
	s_waitcnt lgkmcnt(0)
	v_add_f64 v[22:23], v[14:15], v[18:19]
	v_add_f64 v[24:25], v[20:21], v[16:17]
	v_add_f64 v[26:27], v[14:15], -v[18:19]
	v_add_f64 v[14:15], v[16:17], -v[20:21]
	s_waitcnt vmcnt(2)
	v_fma_f64 v[28:29], v[26:27], v[10:11], v[22:23]
	v_fma_f64 v[16:17], v[24:25], v[10:11], v[14:15]
	v_fma_f64 v[18:19], -v[26:27], v[10:11], v[22:23]
	v_fma_f64 v[20:21], v[24:25], v[10:11], -v[14:15]
	v_fma_f64 v[14:15], -v[24:25], v[8:9], v[28:29]
	v_fmac_f64_e32 v[16:17], v[26:27], v[8:9]
	v_fmac_f64_e32 v[18:19], v[24:25], v[8:9]
	v_fmac_f64_e32 v[20:21], v[26:27], v[8:9]
	ds_write_b128 v182, v[14:17] offset:1664
	ds_write_b128 v12, v[18:21] offset:6656
	ds_read_b128 v[8:11], v182 offset:2496
	ds_read_b128 v[14:17], v12 offset:5824
	s_waitcnt lgkmcnt(0)
	v_add_f64 v[18:19], v[8:9], v[14:15]
	v_add_f64 v[20:21], v[16:17], v[10:11]
	v_add_f64 v[22:23], v[8:9], -v[14:15]
	v_add_f64 v[8:9], v[10:11], -v[16:17]
	;; [unrolled: 18-line block ×3, first 2 shown]
	s_waitcnt vmcnt(0)
	v_fma_f64 v[20:21], v[18:19], v[6:7], v[14:15]
	v_fma_f64 v[2:3], v[16:17], v[6:7], v[0:1]
	v_fma_f64 v[8:9], -v[18:19], v[6:7], v[14:15]
	v_fma_f64 v[10:11], v[16:17], v[6:7], -v[0:1]
	v_fma_f64 v[0:1], -v[16:17], v[4:5], v[20:21]
	v_fmac_f64_e32 v[2:3], v[18:19], v[4:5]
	v_fmac_f64_e32 v[8:9], v[16:17], v[4:5]
	;; [unrolled: 1-line block ×3, first 2 shown]
	ds_write_b128 v182, v[0:3] offset:3328
	ds_write_b128 v12, v[8:11] offset:4992
	s_waitcnt lgkmcnt(0)
	; wave barrier
	s_waitcnt lgkmcnt(0)
	s_waitcnt lgkmcnt(0)
	; wave barrier
	s_waitcnt lgkmcnt(0)
	ds_read_b128 v[20:23], v182
	ds_read_b128 v[24:27], v182 offset:640
	ds_read_b128 v[8:11], v182 offset:7680
	;; [unrolled: 1-line block ×6, first 2 shown]
	s_waitcnt lgkmcnt(4)
	v_add_f64 v[90:91], v[24:25], -v[8:9]
	v_add_f64 v[96:97], v[26:27], -v[10:11]
	v_add_f64 v[86:87], v[24:25], v[8:9]
	v_add_f64 v[102:103], v[26:27], v[10:11]
	s_waitcnt lgkmcnt(1)
	v_add_f64 v[92:93], v[28:29], -v[12:13]
	v_add_f64 v[98:99], v[30:31], -v[14:15]
	v_mul_f64 v[110:111], v[96:97], s[4:5]
	v_mul_f64 v[120:121], v[90:91], s[4:5]
	v_add_f64 v[88:89], v[28:29], v[12:13]
	v_add_f64 v[104:105], v[30:31], v[14:15]
	s_waitcnt lgkmcnt(0)
	v_add_f64 v[106:107], v[34:35], -v[18:19]
	v_add_f64 v[100:101], v[32:33], -v[16:17]
	v_mul_f64 v[112:113], v[98:99], s[14:15]
	v_mul_f64 v[122:123], v[92:93], s[14:15]
	v_fma_f64 v[0:1], s[2:3], v[86:87], v[110:111]
	v_fma_f64 v[2:3], v[102:103], s[2:3], -v[120:121]
	v_add_f64 v[94:95], v[32:33], v[16:17]
	v_add_f64 v[108:109], v[34:35], v[18:19]
	v_mul_f64 v[114:115], v[106:107], s[18:19]
	v_mul_f64 v[126:127], v[100:101], s[18:19]
	v_fma_f64 v[4:5], s[12:13], v[88:89], v[112:113]
	v_fma_f64 v[6:7], v[104:105], s[12:13], -v[122:123]
	v_add_f64 v[0:1], v[20:21], v[0:1]
	v_add_f64 v[2:3], v[22:23], v[2:3]
	v_fma_f64 v[36:37], s[16:17], v[94:95], v[114:115]
	v_fma_f64 v[38:39], v[108:109], s[16:17], -v[126:127]
	v_add_f64 v[0:1], v[4:5], v[0:1]
	v_add_f64 v[2:3], v[6:7], v[2:3]
	;; [unrolled: 1-line block ×4, first 2 shown]
	ds_read_b128 v[36:39], v182 offset:5760
	ds_read_b128 v[40:43], v182 offset:2560
	;; [unrolled: 1-line block ×6, first 2 shown]
	v_mul_f64 v[158:159], v[96:97], s[28:29]
	v_mul_f64 v[160:161], v[98:99], s[18:19]
	s_waitcnt lgkmcnt(4)
	v_add_f64 v[128:129], v[42:43], -v[38:39]
	v_add_f64 v[116:117], v[40:41], v[36:37]
	v_mul_f64 v[140:141], v[128:129], s[26:27]
	v_add_f64 v[124:125], v[40:41], -v[36:37]
	v_fma_f64 v[4:5], s[20:21], v[116:117], v[140:141]
	v_add_f64 v[136:137], v[42:43], v[38:39]
	v_mul_f64 v[150:151], v[124:125], s[26:27]
	s_waitcnt lgkmcnt(2)
	v_add_f64 v[134:135], v[46:47], -v[50:51]
	v_add_f64 v[0:1], v[4:5], v[0:1]
	v_fma_f64 v[4:5], v[136:137], s[20:21], -v[150:151]
	v_add_f64 v[118:119], v[44:45], v[48:49]
	v_mul_f64 v[146:147], v[134:135], s[34:35]
	v_add_f64 v[132:133], v[44:45], -v[48:49]
	v_add_f64 v[2:3], v[4:5], v[2:3]
	v_fma_f64 v[4:5], s[24:25], v[118:119], v[146:147]
	v_add_f64 v[142:143], v[46:47], v[50:51]
	v_mul_f64 v[154:155], v[132:133], s[34:35]
	s_waitcnt lgkmcnt(0)
	v_add_f64 v[144:145], v[54:55], -v[58:59]
	v_add_f64 v[0:1], v[4:5], v[0:1]
	v_fma_f64 v[4:5], v[142:143], s[24:25], -v[154:155]
	v_add_f64 v[130:131], v[52:53], v[56:57]
	v_mul_f64 v[152:153], v[144:145], s[36:37]
	v_add_f64 v[138:139], v[52:53], -v[56:57]
	v_add_f64 v[2:3], v[4:5], v[2:3]
	v_fma_f64 v[4:5], s[30:31], v[130:131], v[152:153]
	v_add_f64 v[148:149], v[54:55], v[58:59]
	v_mul_f64 v[156:157], v[138:139], s[36:37]
	v_add_f64 v[0:1], v[4:5], v[0:1]
	v_fma_f64 v[4:5], v[148:149], s[30:31], -v[156:157]
	v_add_f64 v[2:3], v[4:5], v[2:3]
	v_fma_f64 v[4:5], s[24:25], v[86:87], v[158:159]
	v_add_f64 v[4:5], v[20:21], v[4:5]
	v_fma_f64 v[6:7], s[16:17], v[88:89], v[160:161]
	v_mul_f64 v[164:165], v[90:91], s[28:29]
	v_add_f64 v[4:5], v[6:7], v[4:5]
	v_fma_f64 v[6:7], v[102:103], s[24:25], -v[164:165]
	v_mul_f64 v[168:169], v[92:93], s[18:19]
	v_add_f64 v[6:7], v[22:23], v[6:7]
	v_fma_f64 v[60:61], v[104:105], s[16:17], -v[168:169]
	v_mul_f64 v[162:163], v[106:107], s[40:41]
	v_add_f64 v[6:7], v[60:61], v[6:7]
	v_fma_f64 v[60:61], s[12:13], v[94:95], v[162:163]
	v_mul_f64 v[172:173], v[100:101], s[40:41]
	v_add_f64 v[4:5], v[60:61], v[4:5]
	v_fma_f64 v[60:61], v[108:109], s[12:13], -v[172:173]
	v_mul_f64 v[166:167], v[128:129], s[36:37]
	v_add_f64 v[6:7], v[60:61], v[6:7]
	v_fma_f64 v[60:61], s[30:31], v[116:117], v[166:167]
	;; [unrolled: 6-line block ×4, first 2 shown]
	v_mul_f64 v[180:181], v[138:139], s[38:39]
	v_add_f64 v[4:5], v[60:61], v[4:5]
	v_fma_f64 v[60:61], v[148:149], s[20:21], -v[180:181]
	v_add_f64 v[6:7], v[60:61], v[6:7]
	s_waitcnt lgkmcnt(0)
	; wave barrier
	s_and_saveexec_b64 s[22:23], vcc
	s_cbranch_execz .LBB0_21
; %bb.20:
	s_mov_b32 s45, 0x3fcea1e5
	s_mov_b32 s44, s18
	v_mul_f64 v[64:65], v[102:103], s[16:17]
	s_mov_b32 s43, 0xbfddbe06
	s_mov_b32 s42, s36
	v_fma_f64 v[60:61], s[44:45], v[90:91], v[64:65]
	v_mul_f64 v[66:67], v[104:105], s[30:31]
	v_add_f64 v[60:61], v[22:23], v[60:61]
	v_fma_f64 v[62:63], s[42:43], v[92:93], v[66:67]
	v_mul_f64 v[68:69], v[108:109], s[20:21]
	v_add_f64 v[60:61], v[62:63], v[60:61]
	;; [unrolled: 3-line block ×6, first 2 shown]
	v_fma_f64 v[78:79], s[30:31], v[88:89], v[76:77]
	v_fmac_f64_e32 v[64:65], s[18:19], v[90:91]
	v_add_f64 v[62:63], v[78:79], v[62:63]
	v_mul_f64 v[78:79], v[106:107], s[38:39]
	v_fmac_f64_e32 v[66:67], s[36:37], v[92:93]
	v_add_f64 v[64:65], v[22:23], v[64:65]
	v_fma_f64 v[184:185], s[20:21], v[94:95], v[78:79]
	s_mov_b32 s47, 0x3fea55e2
	s_mov_b32 s46, s4
	v_add_f64 v[64:65], v[66:67], v[64:65]
	v_fmac_f64_e32 v[68:69], s[38:39], v[100:101]
	v_add_f64 v[62:63], v[184:185], v[62:63]
	v_mul_f64 v[184:185], v[128:129], s[46:47]
	v_add_f64 v[64:65], v[68:69], v[64:65]
	v_fma_f64 v[68:69], v[86:87], s[16:17], -v[74:75]
	v_fma_f64 v[186:187], s[2:3], v[116:117], v[184:185]
	v_fma_f64 v[66:67], v[88:89], s[30:31], -v[76:77]
	v_add_f64 v[68:69], v[20:21], v[68:69]
	v_add_f64 v[62:63], v[186:187], v[62:63]
	v_mul_f64 v[186:187], v[134:135], s[14:15]
	v_fmac_f64_e32 v[70:71], s[46:47], v[124:125]
	v_add_f64 v[66:67], v[66:67], v[68:69]
	v_fma_f64 v[68:69], v[94:95], s[20:21], -v[78:79]
	v_fma_f64 v[188:189], s[12:13], v[118:119], v[186:187]
	v_mul_f64 v[190:191], v[148:149], s[24:25]
	v_add_f64 v[64:65], v[70:71], v[64:65]
	v_fmac_f64_e32 v[72:73], s[14:15], v[132:133]
	v_add_f64 v[66:67], v[68:69], v[66:67]
	v_fma_f64 v[68:69], v[116:117], s[2:3], -v[184:185]
	v_add_f64 v[188:189], v[188:189], v[62:63]
	v_fma_f64 v[62:63], s[28:29], v[138:139], v[190:191]
	v_mul_f64 v[192:193], v[144:145], s[34:35]
	v_add_f64 v[64:65], v[72:73], v[64:65]
	v_add_f64 v[66:67], v[68:69], v[66:67]
	v_fma_f64 v[68:69], v[118:119], s[12:13], -v[186:187]
	v_fmac_f64_e32 v[190:191], s[34:35], v[138:139]
	v_add_f64 v[68:69], v[68:69], v[66:67]
	v_add_f64 v[66:67], v[190:191], v[64:65]
	v_fma_f64 v[64:65], v[130:131], s[24:25], -v[192:193]
	v_mul_f64 v[72:73], v[102:103], s[20:21]
	v_add_f64 v[64:65], v[64:65], v[68:69]
	v_fma_f64 v[68:69], s[26:27], v[90:91], v[72:73]
	v_mul_f64 v[74:75], v[104:105], s[24:25]
	v_add_f64 v[68:69], v[22:23], v[68:69]
	v_fma_f64 v[70:71], s[28:29], v[92:93], v[74:75]
	;; [unrolled: 3-line block ×5, first 2 shown]
	v_add_f64 v[68:69], v[70:71], v[68:69]
	v_fma_f64 v[70:71], s[42:43], v[132:133], v[184:185]
	v_mul_f64 v[186:187], v[96:97], s[38:39]
	v_add_f64 v[60:61], v[60:61], v[188:189]
	v_add_f64 v[68:69], v[70:71], v[68:69]
	v_fma_f64 v[70:71], s[20:21], v[86:87], v[186:187]
	v_mul_f64 v[188:189], v[98:99], s[34:35]
	v_add_f64 v[70:71], v[20:21], v[70:71]
	v_fma_f64 v[190:191], s[24:25], v[88:89], v[188:189]
	v_fmac_f64_e32 v[72:73], s[38:39], v[90:91]
	v_add_f64 v[70:71], v[190:191], v[70:71]
	v_mul_f64 v[190:191], v[106:107], s[4:5]
	v_fmac_f64_e32 v[74:75], s[34:35], v[92:93]
	v_add_f64 v[72:73], v[22:23], v[72:73]
	v_fma_f64 v[192:193], s[2:3], v[94:95], v[190:191]
	v_add_f64 v[72:73], v[74:75], v[72:73]
	v_fmac_f64_e32 v[76:77], s[4:5], v[100:101]
	v_add_f64 v[70:71], v[192:193], v[70:71]
	v_mul_f64 v[192:193], v[128:129], s[44:45]
	v_add_f64 v[72:73], v[76:77], v[72:73]
	v_fma_f64 v[76:77], v[86:87], s[20:21], -v[186:187]
	v_fma_f64 v[194:195], s[16:17], v[116:117], v[192:193]
	v_fma_f64 v[74:75], v[88:89], s[24:25], -v[188:189]
	v_add_f64 v[76:77], v[20:21], v[76:77]
	v_add_f64 v[70:71], v[194:195], v[70:71]
	v_mul_f64 v[194:195], v[134:135], s[36:37]
	v_fmac_f64_e32 v[78:79], s[44:45], v[124:125]
	v_add_f64 v[74:75], v[74:75], v[76:77]
	v_fma_f64 v[76:77], v[94:95], s[2:3], -v[190:191]
	v_fma_f64 v[196:197], s[30:31], v[118:119], v[194:195]
	v_mul_f64 v[198:199], v[148:149], s[12:13]
	v_add_f64 v[72:73], v[78:79], v[72:73]
	v_fmac_f64_e32 v[184:185], s[36:37], v[132:133]
	v_add_f64 v[74:75], v[76:77], v[74:75]
	v_fma_f64 v[76:77], v[116:117], s[16:17], -v[192:193]
	v_add_f64 v[196:197], v[196:197], v[70:71]
	v_fma_f64 v[70:71], s[40:41], v[138:139], v[198:199]
	v_mul_f64 v[200:201], v[144:145], s[14:15]
	v_add_f64 v[72:73], v[184:185], v[72:73]
	v_add_f64 v[74:75], v[76:77], v[74:75]
	v_fma_f64 v[76:77], v[118:119], s[30:31], -v[194:195]
	v_fmac_f64_e32 v[198:199], s[14:15], v[138:139]
	v_add_f64 v[76:77], v[76:77], v[74:75]
	v_add_f64 v[74:75], v[198:199], v[72:73]
	v_fma_f64 v[72:73], v[130:131], s[12:13], -v[200:201]
	v_mul_f64 v[184:185], v[102:103], s[12:13]
	v_add_f64 v[72:73], v[72:73], v[76:77]
	v_fma_f64 v[76:77], s[40:41], v[90:91], v[184:185]
	v_mul_f64 v[186:187], v[104:105], s[20:21]
	v_add_f64 v[76:77], v[22:23], v[76:77]
	v_fma_f64 v[78:79], s[38:39], v[92:93], v[186:187]
	;; [unrolled: 3-line block ×5, first 2 shown]
	v_add_f64 v[76:77], v[78:79], v[76:77]
	v_fma_f64 v[78:79], s[18:19], v[132:133], v[192:193]
	v_mul_f64 v[194:195], v[96:97], s[14:15]
	v_add_f64 v[68:69], v[68:69], v[196:197]
	v_add_f64 v[76:77], v[78:79], v[76:77]
	v_fma_f64 v[78:79], s[12:13], v[86:87], v[194:195]
	v_mul_f64 v[196:197], v[98:99], s[26:27]
	v_add_f64 v[78:79], v[20:21], v[78:79]
	v_fma_f64 v[198:199], s[20:21], v[88:89], v[196:197]
	v_fmac_f64_e32 v[184:185], s[14:15], v[90:91]
	v_add_f64 v[78:79], v[198:199], v[78:79]
	v_mul_f64 v[198:199], v[106:107], s[36:37]
	v_fmac_f64_e32 v[186:187], s[26:27], v[92:93]
	v_add_f64 v[184:185], v[22:23], v[184:185]
	v_fma_f64 v[200:201], s[30:31], v[94:95], v[198:199]
	v_add_f64 v[184:185], v[186:187], v[184:185]
	v_fmac_f64_e32 v[188:189], s[36:37], v[100:101]
	v_add_f64 v[78:79], v[200:201], v[78:79]
	v_mul_f64 v[200:201], v[128:129], s[28:29]
	v_add_f64 v[184:185], v[188:189], v[184:185]
	v_fma_f64 v[188:189], v[86:87], s[12:13], -v[194:195]
	v_fma_f64 v[202:203], s[24:25], v[116:117], v[200:201]
	v_fma_f64 v[186:187], v[88:89], s[20:21], -v[196:197]
	v_add_f64 v[188:189], v[20:21], v[188:189]
	v_add_f64 v[78:79], v[202:203], v[78:79]
	v_mul_f64 v[202:203], v[134:135], s[44:45]
	v_fmac_f64_e32 v[190:191], s[28:29], v[124:125]
	v_add_f64 v[186:187], v[186:187], v[188:189]
	v_fma_f64 v[188:189], v[94:95], s[30:31], -v[198:199]
	v_fma_f64 v[204:205], s[16:17], v[118:119], v[202:203]
	v_mul_f64 v[206:207], v[148:149], s[2:3]
	v_add_f64 v[184:185], v[190:191], v[184:185]
	v_fmac_f64_e32 v[192:193], s[44:45], v[132:133]
	v_add_f64 v[186:187], v[188:189], v[186:187]
	v_fma_f64 v[188:189], v[116:117], s[24:25], -v[200:201]
	v_add_f64 v[204:205], v[204:205], v[78:79]
	v_fma_f64 v[78:79], s[4:5], v[138:139], v[206:207]
	v_mul_f64 v[208:209], v[144:145], s[46:47]
	v_add_f64 v[184:185], v[192:193], v[184:185]
	v_add_f64 v[186:187], v[188:189], v[186:187]
	v_fma_f64 v[188:189], v[118:119], s[16:17], -v[202:203]
	v_fmac_f64_e32 v[206:207], s[46:47], v[138:139]
	v_add_f64 v[188:189], v[188:189], v[186:187]
	v_add_f64 v[186:187], v[206:207], v[184:185]
	v_fma_f64 v[184:185], v[130:131], s[2:3], -v[208:209]
	v_add_f64 v[184:185], v[184:185], v[188:189]
	v_mul_f64 v[188:189], v[148:149], s[20:21]
	v_add_f64 v[180:181], v[180:181], v[188:189]
	v_mul_f64 v[188:189], v[142:143], s[2:3]
	;; [unrolled: 2-line block ×6, first 2 shown]
	v_add_f64 v[164:165], v[164:165], v[188:189]
	v_add_f64 v[164:165], v[22:23], v[164:165]
	;; [unrolled: 1-line block ×4, first 2 shown]
	v_mul_f64 v[172:173], v[118:119], s[2:3]
	v_add_f64 v[170:171], v[172:173], -v[170:171]
	v_mul_f64 v[172:173], v[116:117], s[30:31]
	v_add_f64 v[166:167], v[172:173], -v[166:167]
	;; [unrolled: 2-line block ×5, first 2 shown]
	v_add_f64 v[158:159], v[20:21], v[158:159]
	v_add_f64 v[158:159], v[160:161], v[158:159]
	;; [unrolled: 1-line block ×3, first 2 shown]
	v_mul_f64 v[162:163], v[148:149], s[30:31]
	v_add_f64 v[156:157], v[156:157], v[162:163]
	v_mul_f64 v[162:163], v[142:143], s[24:25]
	v_add_f64 v[154:155], v[154:155], v[162:163]
	;; [unrolled: 2-line block ×6, first 2 shown]
	v_add_f64 v[120:121], v[22:23], v[120:121]
	v_add_f64 v[120:121], v[122:123], v[120:121]
	;; [unrolled: 1-line block ×3, first 2 shown]
	v_mul_f64 v[126:127], v[118:119], s[24:25]
	v_add_f64 v[126:127], v[126:127], -v[146:147]
	v_mul_f64 v[146:147], v[116:117], s[20:21]
	v_add_f64 v[120:121], v[150:151], v[120:121]
	v_add_f64 v[140:141], v[146:147], -v[140:141]
	v_mul_f64 v[146:147], v[94:95], s[16:17]
	v_mul_f64 v[150:151], v[86:87], s[2:3]
	v_add_f64 v[114:115], v[146:147], -v[114:115]
	v_mul_f64 v[146:147], v[88:89], s[12:13]
	v_add_f64 v[110:111], v[150:151], -v[110:111]
	v_add_f64 v[146:147], v[146:147], -v[112:113]
	v_add_f64 v[110:111], v[20:21], v[110:111]
	v_add_f64 v[110:111], v[146:147], v[110:111]
	;; [unrolled: 1-line block ×3, first 2 shown]
	v_mul_f64 v[114:115], v[148:149], s[16:17]
	v_mul_f64 v[148:149], v[102:103], s[30:31]
	v_fma_f64 v[102:103], s[36:37], v[90:91], v[148:149]
	v_fmac_f64_e32 v[148:149], s[42:43], v[90:91]
	v_add_f64 v[102:103], v[22:23], v[102:103]
	v_add_f64 v[90:91], v[22:23], v[148:149]
	;; [unrolled: 1-line block ×13, first 2 shown]
	v_mul_f64 v[122:123], v[130:131], s[30:31]
	v_add_f64 v[110:111], v[140:141], v[110:111]
	v_mul_f64 v[146:147], v[104:105], s[2:3]
	v_add_f64 v[10:11], v[14:15], v[10:11]
	v_add_f64 v[14:15], v[20:21], v[24:25]
	v_add_f64 v[122:123], v[122:123], -v[152:153]
	v_add_f64 v[110:111], v[126:127], v[110:111]
	v_mul_f64 v[108:109], v[108:109], s[24:25]
	v_fma_f64 v[104:105], s[46:47], v[92:93], v[146:147]
	v_add_f64 v[14:15], v[14:15], v[28:29]
	v_add_f64 v[110:111], v[122:123], v[110:111]
	v_mul_f64 v[122:123], v[142:143], s[20:21]
	v_mul_f64 v[136:137], v[136:137], s[12:13]
	v_fma_f64 v[142:143], s[34:35], v[100:101], v[108:109]
	v_add_f64 v[102:103], v[104:105], v[102:103]
	v_add_f64 v[14:15], v[14:15], v[32:33]
	v_fma_f64 v[140:141], s[40:41], v[124:125], v[136:137]
	v_add_f64 v[102:103], v[142:143], v[102:103]
	v_add_f64 v[14:15], v[14:15], v[40:41]
	v_add_f64 v[120:121], v[154:155], v[120:121]
	v_fma_f64 v[126:127], s[26:27], v[132:133], v[122:123]
	v_add_f64 v[102:103], v[140:141], v[102:103]
	;; [unrolled: 4-line block ×3, first 2 shown]
	v_mul_f64 v[96:97], v[96:97], s[42:43]
	v_add_f64 v[14:15], v[14:15], v[52:53]
	v_add_f64 v[104:105], v[120:121], v[102:103]
	v_mul_f64 v[120:121], v[144:145], s[18:19]
	v_mul_f64 v[98:99], v[98:99], s[4:5]
	v_fma_f64 v[144:145], s[30:31], v[86:87], v[96:97]
	v_fma_f64 v[86:87], v[86:87], s[30:31], -v[96:97]
	v_add_f64 v[14:15], v[14:15], v[56:57]
	v_mul_f64 v[106:107], v[106:107], s[28:29]
	v_fma_f64 v[142:143], s[2:3], v[88:89], v[98:99]
	v_add_f64 v[144:145], v[20:21], v[144:145]
	v_fmac_f64_e32 v[146:147], s[4:5], v[92:93]
	v_fma_f64 v[88:89], v[88:89], s[2:3], -v[98:99]
	v_add_f64 v[86:87], v[20:21], v[86:87]
	v_add_f64 v[14:15], v[14:15], v[48:49]
	v_mul_f64 v[128:129], v[128:129], s[14:15]
	v_add_f64 v[142:143], v[142:143], v[144:145]
	v_fma_f64 v[144:145], s[24:25], v[94:95], v[106:107]
	v_fmac_f64_e32 v[108:109], s[28:29], v[100:101]
	v_add_f64 v[90:91], v[146:147], v[90:91]
	v_fma_f64 v[94:95], v[94:95], s[24:25], -v[106:107]
	v_add_f64 v[86:87], v[88:89], v[86:87]
	v_add_f64 v[14:15], v[14:15], v[36:37]
	v_mul_f64 v[126:127], v[134:135], s[38:39]
	v_fma_f64 v[140:141], s[12:13], v[116:117], v[128:129]
	v_add_f64 v[142:143], v[144:145], v[142:143]
	v_fmac_f64_e32 v[136:137], s[14:15], v[124:125]
	v_add_f64 v[90:91], v[108:109], v[90:91]
	v_fma_f64 v[108:109], v[116:117], s[12:13], -v[128:129]
	v_add_f64 v[86:87], v[94:95], v[86:87]
	v_add_f64 v[14:15], v[14:15], v[16:17]
	v_add_f64 v[78:79], v[78:79], v[76:77]
	v_fma_f64 v[76:77], s[2:3], v[130:131], v[208:209]
	v_add_f64 v[164:165], v[176:177], v[164:165]
	v_mul_f64 v[168:169], v[130:131], s[20:21]
	v_add_f64 v[158:159], v[166:167], v[158:159]
	v_fma_f64 v[134:135], s[20:21], v[118:119], v[126:127]
	v_add_f64 v[140:141], v[140:141], v[142:143]
	v_fmac_f64_e32 v[122:123], s[38:39], v[132:133]
	v_add_f64 v[90:91], v[136:137], v[90:91]
	v_fma_f64 v[100:101], v[118:119], s[20:21], -v[126:127]
	v_add_f64 v[86:87], v[108:109], v[86:87]
	v_add_f64 v[12:13], v[14:15], v[12:13]
	s_movk_i32 s2, 0xc0
	v_add_f64 v[164:165], v[178:179], v[164:165]
	v_add_f64 v[168:169], v[168:169], -v[174:175]
	v_add_f64 v[158:159], v[170:171], v[158:159]
	v_fma_f64 v[102:103], s[16:17], v[130:131], v[120:121]
	v_add_f64 v[134:135], v[134:135], v[140:141]
	v_fmac_f64_e32 v[114:115], s[18:19], v[138:139]
	v_add_f64 v[90:91], v[122:123], v[90:91]
	v_fma_f64 v[92:93], v[130:131], s[16:17], -v[120:121]
	v_add_f64 v[86:87], v[100:101], v[86:87]
	v_add_f64 v[8:9], v[12:13], v[8:9]
	v_mad_u32_u24 v12, v84, s2, v182
	v_add_f64 v[76:77], v[76:77], v[204:205]
	v_add_f64 v[160:161], v[180:181], v[164:165]
	;; [unrolled: 1-line block ×6, first 2 shown]
	ds_write_b128 v12, v[8:11]
	ds_write_b128 v12, v[88:91] offset:16
	ds_write_b128 v12, v[110:113] offset:32
	;; [unrolled: 1-line block ×12, first 2 shown]
.LBB0_21:
	s_or_b64 exec, exec, s[22:23]
	s_movk_i32 s2, 0x4f
	v_mul_lo_u16_sdwa v8, v84, s2 dst_sel:DWORD dst_unused:UNUSED_PAD src0_sel:BYTE_0 src1_sel:DWORD
	v_lshrrev_b16_e32 v85, 10, v8
	v_mul_lo_u16_e32 v8, 13, v85
	v_sub_u16_e32 v108, v84, v8
	v_mov_b32_e32 v8, 9
	v_mul_u32_u24_sdwa v8, v108, v8 dst_sel:DWORD dst_unused:UNUSED_PAD src0_sel:BYTE_0 src1_sel:DWORD
	v_lshlrev_b32_e32 v8, 4, v8
	s_waitcnt lgkmcnt(0)
	; wave barrier
	s_waitcnt lgkmcnt(0)
	global_load_dwordx4 v[12:15], v8, s[8:9]
	global_load_dwordx4 v[16:19], v8, s[8:9] offset:16
	global_load_dwordx4 v[20:23], v8, s[8:9] offset:32
	;; [unrolled: 1-line block ×8, first 2 shown]
	ds_read_b128 v[8:11], v182
	ds_read_b128 v[48:51], v182 offset:832
	ds_read_b128 v[52:55], v182 offset:1664
	;; [unrolled: 1-line block ×9, first 2 shown]
	s_mov_b32 s14, 0x134454ff
	s_mov_b32 s15, 0x3fee6f0e
	;; [unrolled: 1-line block ×12, first 2 shown]
	s_waitcnt lgkmcnt(0)
	; wave barrier
	s_waitcnt lgkmcnt(0)
	v_cmp_gt_u32_e32 vcc, 26, v84
	s_waitcnt vmcnt(8)
	v_mul_f64 v[90:91], v[50:51], v[14:15]
	v_mul_f64 v[14:15], v[48:49], v[14:15]
	s_waitcnt vmcnt(7)
	v_mul_f64 v[92:93], v[54:55], v[18:19]
	v_mul_f64 v[18:19], v[52:53], v[18:19]
	;; [unrolled: 3-line block ×8, first 2 shown]
	v_fma_f64 v[48:49], v[48:49], v[12:13], -v[90:91]
	v_fmac_f64_e32 v[14:15], v[50:51], v[12:13]
	v_fma_f64 v[12:13], v[52:53], v[16:17], -v[92:93]
	v_fmac_f64_e32 v[18:19], v[54:55], v[16:17]
	;; [unrolled: 2-line block ×8, first 2 shown]
	v_add_f64 v[50:51], v[20:21], v[28:29]
	v_add_f64 v[52:53], v[18:19], -v[42:43]
	v_add_f64 v[56:57], v[12:13], -v[20:21]
	;; [unrolled: 1-line block ×3, first 2 shown]
	v_fma_f64 v[50:51], -0.5, v[50:51], v[8:9]
	s_waitcnt vmcnt(0)
	v_mul_f64 v[106:107], v[88:89], v[46:47]
	v_mul_f64 v[46:47], v[86:87], v[46:47]
	v_add_f64 v[54:55], v[26:27], -v[34:35]
	v_add_f64 v[60:61], v[12:13], v[36:37]
	v_add_f64 v[56:57], v[56:57], v[58:59]
	v_fma_f64 v[58:59], s[14:15], v[52:53], v[50:51]
	v_fmac_f64_e32 v[50:51], s[4:5], v[52:53]
	v_fma_f64 v[40:41], v[86:87], v[44:45], -v[106:107]
	v_fmac_f64_e32 v[46:47], v[88:89], v[44:45]
	v_add_f64 v[44:45], v[8:9], v[12:13]
	v_fmac_f64_e32 v[8:9], -0.5, v[60:61]
	v_fmac_f64_e32 v[58:59], s[16:17], v[54:55]
	v_fmac_f64_e32 v[50:51], s[12:13], v[54:55]
	v_add_f64 v[44:45], v[44:45], v[20:21]
	v_fmac_f64_e32 v[58:59], s[2:3], v[56:57]
	v_fmac_f64_e32 v[50:51], s[2:3], v[56:57]
	v_fma_f64 v[56:57], s[4:5], v[54:55], v[8:9]
	v_add_f64 v[60:61], v[20:21], -v[12:13]
	v_add_f64 v[62:63], v[28:29], -v[36:37]
	v_fmac_f64_e32 v[8:9], s[14:15], v[54:55]
	v_add_f64 v[54:55], v[26:27], v[34:35]
	v_add_f64 v[44:45], v[44:45], v[28:29]
	v_fmac_f64_e32 v[56:57], s[16:17], v[52:53]
	v_add_f64 v[60:61], v[60:61], v[62:63]
	v_fmac_f64_e32 v[8:9], s[12:13], v[52:53]
	v_fma_f64 v[54:55], -0.5, v[54:55], v[10:11]
	v_add_f64 v[12:13], v[12:13], -v[36:37]
	v_add_f64 v[44:45], v[44:45], v[36:37]
	v_fmac_f64_e32 v[56:57], s[2:3], v[60:61]
	v_fmac_f64_e32 v[8:9], s[2:3], v[60:61]
	v_fma_f64 v[60:61], s[4:5], v[12:13], v[54:55]
	v_add_f64 v[20:21], v[20:21], -v[28:29]
	v_add_f64 v[28:29], v[18:19], -v[26:27]
	;; [unrolled: 1-line block ×3, first 2 shown]
	v_fmac_f64_e32 v[54:55], s[14:15], v[12:13]
	v_fmac_f64_e32 v[60:61], s[12:13], v[20:21]
	v_add_f64 v[28:29], v[28:29], v[36:37]
	v_fmac_f64_e32 v[54:55], s[16:17], v[20:21]
	v_fmac_f64_e32 v[60:61], s[2:3], v[28:29]
	;; [unrolled: 1-line block ×3, first 2 shown]
	v_add_f64 v[28:29], v[18:19], v[42:43]
	v_add_f64 v[52:53], v[10:11], v[18:19]
	v_fmac_f64_e32 v[10:11], -0.5, v[28:29]
	v_add_f64 v[52:53], v[52:53], v[26:27]
	v_fma_f64 v[62:63], s[14:15], v[20:21], v[10:11]
	v_add_f64 v[18:19], v[26:27], -v[18:19]
	v_add_f64 v[26:27], v[34:35], -v[42:43]
	v_fmac_f64_e32 v[10:11], s[4:5], v[20:21]
	v_fmac_f64_e32 v[62:63], s[12:13], v[12:13]
	v_add_f64 v[18:19], v[18:19], v[26:27]
	v_fmac_f64_e32 v[10:11], s[16:17], v[12:13]
	v_fmac_f64_e32 v[62:63], s[2:3], v[18:19]
	v_fmac_f64_e32 v[10:11], s[2:3], v[18:19]
	v_add_f64 v[18:19], v[24:25], v[32:33]
	v_add_f64 v[52:53], v[52:53], v[34:35]
	v_fma_f64 v[34:35], -0.5, v[18:19], v[48:49]
	v_add_f64 v[18:19], v[22:23], -v[46:47]
	v_fma_f64 v[26:27], s[14:15], v[18:19], v[34:35]
	v_add_f64 v[20:21], v[30:31], -v[38:39]
	v_add_f64 v[28:29], v[16:17], -v[24:25]
	;; [unrolled: 1-line block ×3, first 2 shown]
	v_fmac_f64_e32 v[34:35], s[4:5], v[18:19]
	v_fmac_f64_e32 v[26:27], s[16:17], v[20:21]
	v_add_f64 v[28:29], v[28:29], v[36:37]
	v_fmac_f64_e32 v[34:35], s[12:13], v[20:21]
	v_fmac_f64_e32 v[26:27], s[2:3], v[28:29]
	;; [unrolled: 1-line block ×3, first 2 shown]
	v_add_f64 v[28:29], v[16:17], v[40:41]
	v_add_f64 v[12:13], v[48:49], v[16:17]
	v_fmac_f64_e32 v[48:49], -0.5, v[28:29]
	v_fma_f64 v[36:37], s[4:5], v[20:21], v[48:49]
	v_fmac_f64_e32 v[48:49], s[14:15], v[20:21]
	v_fmac_f64_e32 v[36:37], s[16:17], v[18:19]
	;; [unrolled: 1-line block ×3, first 2 shown]
	v_add_f64 v[18:19], v[14:15], v[22:23]
	v_add_f64 v[18:19], v[18:19], v[30:31]
	v_add_f64 v[52:53], v[52:53], v[42:43]
	v_add_f64 v[28:29], v[24:25], -v[16:17]
	v_add_f64 v[42:43], v[32:33], -v[40:41]
	v_add_f64 v[18:19], v[18:19], v[38:39]
	v_add_f64 v[12:13], v[12:13], v[24:25]
	;; [unrolled: 1-line block ×6, first 2 shown]
	v_fma_f64 v[64:65], -0.5, v[18:19], v[14:15]
	v_add_f64 v[16:17], v[16:17], -v[40:41]
	v_add_f64 v[12:13], v[12:13], v[40:41]
	v_fma_f64 v[40:41], s[4:5], v[16:17], v[64:65]
	v_add_f64 v[18:19], v[24:25], -v[32:33]
	v_add_f64 v[20:21], v[22:23], -v[30:31]
	;; [unrolled: 1-line block ×3, first 2 shown]
	v_fmac_f64_e32 v[64:65], s[14:15], v[16:17]
	v_fmac_f64_e32 v[40:41], s[12:13], v[18:19]
	v_add_f64 v[20:21], v[20:21], v[24:25]
	v_fmac_f64_e32 v[64:65], s[16:17], v[18:19]
	v_fmac_f64_e32 v[40:41], s[2:3], v[20:21]
	;; [unrolled: 1-line block ×3, first 2 shown]
	v_add_f64 v[20:21], v[22:23], v[46:47]
	v_fmac_f64_e32 v[14:15], -0.5, v[20:21]
	v_fma_f64 v[66:67], s[14:15], v[18:19], v[14:15]
	v_add_f64 v[20:21], v[30:31], -v[22:23]
	v_add_f64 v[22:23], v[38:39], -v[46:47]
	v_fmac_f64_e32 v[66:67], s[12:13], v[16:17]
	v_add_f64 v[20:21], v[20:21], v[22:23]
	v_fmac_f64_e32 v[14:15], s[4:5], v[18:19]
	v_fmac_f64_e32 v[48:49], s[2:3], v[28:29]
	;; [unrolled: 1-line block ×6, first 2 shown]
	v_mul_f64 v[46:47], v[66:67], s[14:15]
	v_mul_f64 v[18:19], v[48:49], s[2:3]
	v_fmac_f64_e32 v[46:47], s[2:3], v[36:37]
	v_fma_f64 v[68:69], v[14:15], s[14:15], -v[18:19]
	v_mul_f64 v[74:75], v[36:37], s[4:5]
	v_mul_f64 v[14:15], v[14:15], s[2:3]
	;; [unrolled: 1-line block ×3, first 2 shown]
	v_fma_f64 v[14:15], v[48:49], s[4:5], -v[14:15]
	v_fma_f64 v[48:49], v[34:35], s[12:13], -v[36:37]
	v_mul_f64 v[38:39], v[40:41], s[16:17]
	v_mul_f64 v[18:19], v[34:35], s[18:19]
	;; [unrolled: 1-line block ×3, first 2 shown]
	v_add_f64 v[30:31], v[10:11], v[14:15]
	v_add_f64 v[34:35], v[54:55], v[48:49]
	v_add_f64 v[10:11], v[10:11], -v[14:15]
	v_add_f64 v[14:15], v[54:55], -v[48:49]
	v_mov_b32_e32 v49, 4
	v_fmac_f64_e32 v[38:39], s[18:19], v[26:27]
	v_fma_f64 v[70:71], v[64:65], s[16:17], -v[18:19]
	v_fmac_f64_e32 v[72:73], s[18:19], v[40:41]
	v_fmac_f64_e32 v[74:75], s[2:3], v[66:67]
	v_mul_u32_u24_e32 v48, 0x820, v85
	v_lshlrev_b32_sdwa v49, v49, v108 dst_sel:DWORD dst_unused:UNUSED_PAD src0_sel:DWORD src1_sel:BYTE_0
	v_add_f64 v[16:17], v[44:45], v[12:13]
	v_add_f64 v[20:21], v[58:59], v[38:39]
	;; [unrolled: 1-line block ×8, first 2 shown]
	v_add_f64 v[36:37], v[44:45], -v[12:13]
	v_add_f64 v[40:41], v[58:59], -v[38:39]
	;; [unrolled: 1-line block ×6, first 2 shown]
	v_add3_u32 v48, 0, v48, v49
	v_add_f64 v[8:9], v[8:9], -v[68:69]
	v_add_f64 v[12:13], v[50:51], -v[70:71]
	ds_write_b128 v48, v[16:19]
	ds_write_b128 v48, v[20:23] offset:208
	ds_write_b128 v48, v[24:27] offset:416
	;; [unrolled: 1-line block ×9, first 2 shown]
	s_waitcnt lgkmcnt(0)
	; wave barrier
	s_waitcnt lgkmcnt(0)
	ds_read_b128 v[20:23], v182
	ds_read_b128 v[16:19], v182 offset:832
	ds_read_b128 v[36:39], v182 offset:2080
	;; [unrolled: 1-line block ×7, first 2 shown]
	s_and_saveexec_b64 s[2:3], vcc
	s_cbranch_execz .LBB0_23
; %bb.22:
	ds_read_b128 v[8:11], v182 offset:1664
	ds_read_b128 v[12:15], v182 offset:3744
	;; [unrolled: 1-line block ×4, first 2 shown]
.LBB0_23:
	s_or_b64 exec, exec, s[2:3]
	v_mul_u32_u24_e32 v48, 3, v84
	v_lshlrev_b32_e32 v48, 4, v48
	v_mov_b32_e32 v49, 0
	s_movk_i32 s2, 0x1000
	v_lshl_add_u64 v[66:67], s[8:9], 0, v[48:49]
	global_load_dwordx4 v[50:53], v48, s[8:9] offset:1872
	global_load_dwordx4 v[54:57], v48, s[8:9] offset:1904
	global_load_dwordx4 v[58:61], v48, s[8:9] offset:1888
	s_mov_b64 s[4:5], 0x1110
	v_add_co_u32_e64 v62, s[2:3], s2, v66
	v_lshl_add_u64 v[74:75], v[66:67], 0, s[4:5]
	s_nop 0
	v_addc_co_u32_e64 v63, s[2:3], 0, v67, s[2:3]
	global_load_dwordx4 v[62:65], v[62:63], off offset:272
	s_nop 0
	global_load_dwordx4 v[66:69], v[74:75], off offset:16
	global_load_dwordx4 v[70:73], v[74:75], off offset:32
	s_waitcnt lgkmcnt(0)
	; wave barrier
	s_waitcnt vmcnt(5) lgkmcnt(0)
	v_mul_f64 v[74:75], v[38:39], v[52:53]
	v_mul_f64 v[52:53], v[36:37], v[52:53]
	s_waitcnt vmcnt(3)
	v_mul_f64 v[76:77], v[42:43], v[60:61]
	v_mul_f64 v[78:79], v[46:47], v[56:57]
	;; [unrolled: 1-line block ×4, first 2 shown]
	v_fma_f64 v[36:37], v[36:37], v[50:51], -v[74:75]
	v_fmac_f64_e32 v[52:53], v[38:39], v[50:51]
	v_fma_f64 v[38:39], v[40:41], v[58:59], -v[76:77]
	v_fma_f64 v[40:41], v[44:45], v[54:55], -v[78:79]
	v_fmac_f64_e32 v[56:57], v[46:47], v[54:55]
	v_fmac_f64_e32 v[60:61], v[42:43], v[58:59]
	s_waitcnt vmcnt(2)
	v_mul_f64 v[42:43], v[26:27], v[64:65]
	v_mul_f64 v[44:45], v[24:25], v[64:65]
	s_waitcnt vmcnt(1)
	v_mul_f64 v[46:47], v[30:31], v[68:69]
	v_mul_f64 v[50:51], v[28:29], v[68:69]
	;; [unrolled: 3-line block ×3, first 2 shown]
	v_add_f64 v[38:39], v[20:21], -v[38:39]
	v_add_f64 v[40:41], v[36:37], -v[40:41]
	;; [unrolled: 1-line block ×4, first 2 shown]
	v_fma_f64 v[42:43], v[24:25], v[62:63], -v[42:43]
	v_fmac_f64_e32 v[44:45], v[26:27], v[62:63]
	v_fma_f64 v[46:47], v[28:29], v[66:67], -v[46:47]
	v_fmac_f64_e32 v[50:51], v[30:31], v[66:67]
	;; [unrolled: 2-line block ×3, first 2 shown]
	v_fma_f64 v[34:35], v[20:21], 2.0, -v[38:39]
	v_fma_f64 v[24:25], v[36:37], 2.0, -v[40:41]
	v_add_f64 v[20:21], v[38:39], -v[56:57]
	v_fma_f64 v[54:55], v[22:23], 2.0, -v[60:61]
	v_fma_f64 v[26:27], v[52:53], 2.0, -v[56:57]
	v_add_f64 v[22:23], v[60:61], v[40:41]
	v_add_f64 v[24:25], v[34:35], -v[24:25]
	v_fma_f64 v[28:29], v[38:39], 2.0, -v[20:21]
	v_add_f64 v[36:37], v[16:17], -v[46:47]
	v_add_f64 v[38:39], v[18:19], -v[50:51]
	;; [unrolled: 1-line block ×5, first 2 shown]
	v_fma_f64 v[30:31], v[60:61], 2.0, -v[22:23]
	ds_write_b128 v182, v[20:23] offset:6240
	v_fma_f64 v[20:21], v[34:35], 2.0, -v[24:25]
	v_fma_f64 v[34:35], v[16:17], 2.0, -v[36:37]
	;; [unrolled: 1-line block ×5, first 2 shown]
	v_add_f64 v[16:17], v[36:37], -v[40:41]
	v_add_f64 v[18:19], v[38:39], v[32:33]
	v_fma_f64 v[22:23], v[54:55], 2.0, -v[26:27]
	ds_write_b128 v182, v[28:31] offset:2080
	ds_write_b128 v182, v[24:27] offset:4160
	v_add_f64 v[24:25], v[34:35], -v[42:43]
	v_add_f64 v[26:27], v[46:47], -v[44:45]
	v_fma_f64 v[28:29], v[36:37], 2.0, -v[16:17]
	v_fma_f64 v[30:31], v[38:39], 2.0, -v[18:19]
	ds_write_b128 v182, v[20:23]
	v_fma_f64 v[20:21], v[34:35], 2.0, -v[24:25]
	v_fma_f64 v[22:23], v[46:47], 2.0, -v[26:27]
	ds_write_b128 v182, v[28:31] offset:2912
	ds_write_b128 v182, v[24:27] offset:4992
	;; [unrolled: 1-line block ×4, first 2 shown]
	s_and_saveexec_b64 s[2:3], vcc
	s_cbranch_execz .LBB0_25
; %bb.24:
	v_add_u32_e32 v16, 0x68, v84
	v_subrev_u32_e32 v17, 26, v84
	v_cndmask_b32_e32 v16, v17, v16, vcc
	v_mul_i32_i24_e32 v48, 3, v16
	v_lshl_add_u64 v[28:29], v[48:49], 4, s[8:9]
	global_load_dwordx4 v[16:19], v[28:29], off offset:1888
	global_load_dwordx4 v[20:23], v[28:29], off offset:1872
	;; [unrolled: 1-line block ×3, first 2 shown]
	s_waitcnt vmcnt(2)
	v_mul_f64 v[28:29], v[4:5], v[18:19]
	s_waitcnt vmcnt(1)
	v_mul_f64 v[30:31], v[14:15], v[22:23]
	;; [unrolled: 2-line block ×3, first 2 shown]
	v_mul_f64 v[18:19], v[6:7], v[18:19]
	v_mul_f64 v[22:23], v[12:13], v[22:23]
	;; [unrolled: 1-line block ×3, first 2 shown]
	v_fmac_f64_e32 v[28:29], v[6:7], v[16:17]
	v_fma_f64 v[6:7], v[12:13], v[20:21], -v[30:31]
	v_fma_f64 v[0:1], v[0:1], v[24:25], -v[32:33]
	;; [unrolled: 1-line block ×3, first 2 shown]
	v_fmac_f64_e32 v[22:23], v[14:15], v[20:21]
	v_fmac_f64_e32 v[26:27], v[2:3], v[24:25]
	v_add_f64 v[12:13], v[10:11], -v[28:29]
	v_add_f64 v[14:15], v[6:7], -v[0:1]
	;; [unrolled: 1-line block ×4, first 2 shown]
	v_add_f64 v[2:3], v[12:13], v[14:15]
	v_add_f64 v[0:1], v[4:5], -v[16:17]
	v_fma_f64 v[18:19], v[10:11], 2.0, -v[12:13]
	v_fma_f64 v[10:11], v[22:23], 2.0, -v[16:17]
	;; [unrolled: 1-line block ×6, first 2 shown]
	v_add_f64 v[10:11], v[18:19], -v[10:11]
	v_add_f64 v[8:9], v[16:17], -v[8:9]
	v_fma_f64 v[14:15], v[18:19], 2.0, -v[10:11]
	v_fma_f64 v[12:13], v[16:17], 2.0, -v[8:9]
	ds_write_b128 v182, v[4:7] offset:3744
	ds_write_b128 v182, v[8:11] offset:5824
	;; [unrolled: 1-line block ×4, first 2 shown]
.LBB0_25:
	s_or_b64 exec, exec, s[2:3]
	s_waitcnt lgkmcnt(0)
	; wave barrier
	s_waitcnt lgkmcnt(0)
	s_and_saveexec_b64 s[2:3], s[0:1]
	s_cbranch_execz .LBB0_27
; %bb.26:
	v_mul_lo_u32 v0, s11, v82
	v_mul_lo_u32 v1, s10, v83
	v_mad_u64_u32 v[4:5], s[0:1], s10, v82, 0
	v_lshl_add_u32 v12, v84, 4, 0
	v_add3_u32 v5, v5, v1, v0
	ds_read_b128 v[0:3], v12
	v_lshl_add_u64 v[4:5], v[4:5], 4, s[6:7]
	v_lshl_add_u64 v[8:9], v[80:81], 4, v[4:5]
	ds_read_b128 v[4:7], v12 offset:832
	v_mov_b32_e32 v85, 0
	v_lshl_add_u64 v[10:11], v[84:85], 4, v[8:9]
	s_waitcnt lgkmcnt(1)
	global_store_dwordx4 v[10:11], v[0:3], off
	s_nop 1
	v_add_u32_e32 v0, 52, v84
	v_mov_b32_e32 v1, v85
	v_lshl_add_u64 v[0:1], v[0:1], 4, v[8:9]
	s_waitcnt lgkmcnt(0)
	global_store_dwordx4 v[0:1], v[4:7], off
	ds_read_b128 v[0:3], v12 offset:1664
	s_nop 0
	v_add_u32_e32 v4, 0x68, v84
	v_mov_b32_e32 v5, v85
	v_lshl_add_u64 v[10:11], v[4:5], 4, v[8:9]
	ds_read_b128 v[4:7], v12 offset:2496
	s_waitcnt lgkmcnt(1)
	global_store_dwordx4 v[10:11], v[0:3], off
	s_nop 1
	v_add_u32_e32 v0, 0x9c, v84
	v_mov_b32_e32 v1, v85
	v_lshl_add_u64 v[0:1], v[0:1], 4, v[8:9]
	s_waitcnt lgkmcnt(0)
	global_store_dwordx4 v[0:1], v[4:7], off
	ds_read_b128 v[0:3], v12 offset:3328
	s_nop 0
	v_add_u32_e32 v4, 0xd0, v84
	v_mov_b32_e32 v5, v85
	v_lshl_add_u64 v[10:11], v[4:5], 4, v[8:9]
	ds_read_b128 v[4:7], v12 offset:4160
	;; [unrolled: 14-line block ×3, first 2 shown]
	s_waitcnt lgkmcnt(1)
	global_store_dwordx4 v[10:11], v[0:3], off
	v_add_u32_e32 v10, 0x1a0, v84
	v_mov_b32_e32 v11, v85
	v_add_u32_e32 v0, 0x16c, v84
	v_mov_b32_e32 v1, v85
	v_lshl_add_u64 v[0:1], v[0:1], 4, v[8:9]
	s_waitcnt lgkmcnt(0)
	global_store_dwordx4 v[0:1], v[4:7], off
	ds_read_b128 v[0:3], v12 offset:6656
	ds_read_b128 v[4:7], v12 offset:7488
	v_lshl_add_u64 v[10:11], v[10:11], 4, v[8:9]
	v_add_u32_e32 v84, 0x1d4, v84
	s_waitcnt lgkmcnt(1)
	global_store_dwordx4 v[10:11], v[0:3], off
	s_nop 1
	v_lshl_add_u64 v[0:1], v[84:85], 4, v[8:9]
	s_waitcnt lgkmcnt(0)
	global_store_dwordx4 v[0:1], v[4:7], off
.LBB0_27:
	s_endpgm
	.section	.rodata,"a",@progbits
	.p2align	6, 0x0
	.amdhsa_kernel fft_rtc_fwd_len520_factors_13_10_4_wgs_52_tpt_52_dp_op_CI_CI_unitstride_sbrr_C2R_dirReg
		.amdhsa_group_segment_fixed_size 0
		.amdhsa_private_segment_fixed_size 0
		.amdhsa_kernarg_size 104
		.amdhsa_user_sgpr_count 2
		.amdhsa_user_sgpr_dispatch_ptr 0
		.amdhsa_user_sgpr_queue_ptr 0
		.amdhsa_user_sgpr_kernarg_segment_ptr 1
		.amdhsa_user_sgpr_dispatch_id 0
		.amdhsa_user_sgpr_kernarg_preload_length 0
		.amdhsa_user_sgpr_kernarg_preload_offset 0
		.amdhsa_user_sgpr_private_segment_size 0
		.amdhsa_uses_dynamic_stack 0
		.amdhsa_enable_private_segment 0
		.amdhsa_system_sgpr_workgroup_id_x 1
		.amdhsa_system_sgpr_workgroup_id_y 0
		.amdhsa_system_sgpr_workgroup_id_z 0
		.amdhsa_system_sgpr_workgroup_info 0
		.amdhsa_system_vgpr_workitem_id 0
		.amdhsa_next_free_vgpr 210
		.amdhsa_next_free_sgpr 48
		.amdhsa_accum_offset 212
		.amdhsa_reserve_vcc 1
		.amdhsa_float_round_mode_32 0
		.amdhsa_float_round_mode_16_64 0
		.amdhsa_float_denorm_mode_32 3
		.amdhsa_float_denorm_mode_16_64 3
		.amdhsa_dx10_clamp 1
		.amdhsa_ieee_mode 1
		.amdhsa_fp16_overflow 0
		.amdhsa_tg_split 0
		.amdhsa_exception_fp_ieee_invalid_op 0
		.amdhsa_exception_fp_denorm_src 0
		.amdhsa_exception_fp_ieee_div_zero 0
		.amdhsa_exception_fp_ieee_overflow 0
		.amdhsa_exception_fp_ieee_underflow 0
		.amdhsa_exception_fp_ieee_inexact 0
		.amdhsa_exception_int_div_zero 0
	.end_amdhsa_kernel
	.text
.Lfunc_end0:
	.size	fft_rtc_fwd_len520_factors_13_10_4_wgs_52_tpt_52_dp_op_CI_CI_unitstride_sbrr_C2R_dirReg, .Lfunc_end0-fft_rtc_fwd_len520_factors_13_10_4_wgs_52_tpt_52_dp_op_CI_CI_unitstride_sbrr_C2R_dirReg
                                        ; -- End function
	.section	.AMDGPU.csdata,"",@progbits
; Kernel info:
; codeLenInByte = 9580
; NumSgprs: 54
; NumVgprs: 210
; NumAgprs: 0
; TotalNumVgprs: 210
; ScratchSize: 0
; MemoryBound: 0
; FloatMode: 240
; IeeeMode: 1
; LDSByteSize: 0 bytes/workgroup (compile time only)
; SGPRBlocks: 6
; VGPRBlocks: 26
; NumSGPRsForWavesPerEU: 54
; NumVGPRsForWavesPerEU: 210
; AccumOffset: 212
; Occupancy: 2
; WaveLimiterHint : 1
; COMPUTE_PGM_RSRC2:SCRATCH_EN: 0
; COMPUTE_PGM_RSRC2:USER_SGPR: 2
; COMPUTE_PGM_RSRC2:TRAP_HANDLER: 0
; COMPUTE_PGM_RSRC2:TGID_X_EN: 1
; COMPUTE_PGM_RSRC2:TGID_Y_EN: 0
; COMPUTE_PGM_RSRC2:TGID_Z_EN: 0
; COMPUTE_PGM_RSRC2:TIDIG_COMP_CNT: 0
; COMPUTE_PGM_RSRC3_GFX90A:ACCUM_OFFSET: 52
; COMPUTE_PGM_RSRC3_GFX90A:TG_SPLIT: 0
	.text
	.p2alignl 6, 3212836864
	.fill 256, 4, 3212836864
	.type	__hip_cuid_27fdf5d37229de64,@object ; @__hip_cuid_27fdf5d37229de64
	.section	.bss,"aw",@nobits
	.globl	__hip_cuid_27fdf5d37229de64
__hip_cuid_27fdf5d37229de64:
	.byte	0                               ; 0x0
	.size	__hip_cuid_27fdf5d37229de64, 1

	.ident	"AMD clang version 19.0.0git (https://github.com/RadeonOpenCompute/llvm-project roc-6.4.0 25133 c7fe45cf4b819c5991fe208aaa96edf142730f1d)"
	.section	".note.GNU-stack","",@progbits
	.addrsig
	.addrsig_sym __hip_cuid_27fdf5d37229de64
	.amdgpu_metadata
---
amdhsa.kernels:
  - .agpr_count:     0
    .args:
      - .actual_access:  read_only
        .address_space:  global
        .offset:         0
        .size:           8
        .value_kind:     global_buffer
      - .offset:         8
        .size:           8
        .value_kind:     by_value
      - .actual_access:  read_only
        .address_space:  global
        .offset:         16
        .size:           8
        .value_kind:     global_buffer
      - .actual_access:  read_only
        .address_space:  global
        .offset:         24
        .size:           8
        .value_kind:     global_buffer
      - .actual_access:  read_only
        .address_space:  global
        .offset:         32
        .size:           8
        .value_kind:     global_buffer
      - .offset:         40
        .size:           8
        .value_kind:     by_value
      - .actual_access:  read_only
        .address_space:  global
        .offset:         48
        .size:           8
        .value_kind:     global_buffer
      - .actual_access:  read_only
        .address_space:  global
        .offset:         56
        .size:           8
        .value_kind:     global_buffer
      - .offset:         64
        .size:           4
        .value_kind:     by_value
      - .actual_access:  read_only
        .address_space:  global
        .offset:         72
        .size:           8
        .value_kind:     global_buffer
      - .actual_access:  read_only
        .address_space:  global
        .offset:         80
        .size:           8
        .value_kind:     global_buffer
      - .actual_access:  read_only
        .address_space:  global
        .offset:         88
        .size:           8
        .value_kind:     global_buffer
      - .actual_access:  write_only
        .address_space:  global
        .offset:         96
        .size:           8
        .value_kind:     global_buffer
    .group_segment_fixed_size: 0
    .kernarg_segment_align: 8
    .kernarg_segment_size: 104
    .language:       OpenCL C
    .language_version:
      - 2
      - 0
    .max_flat_workgroup_size: 52
    .name:           fft_rtc_fwd_len520_factors_13_10_4_wgs_52_tpt_52_dp_op_CI_CI_unitstride_sbrr_C2R_dirReg
    .private_segment_fixed_size: 0
    .sgpr_count:     54
    .sgpr_spill_count: 0
    .symbol:         fft_rtc_fwd_len520_factors_13_10_4_wgs_52_tpt_52_dp_op_CI_CI_unitstride_sbrr_C2R_dirReg.kd
    .uniform_work_group_size: 1
    .uses_dynamic_stack: false
    .vgpr_count:     210
    .vgpr_spill_count: 0
    .wavefront_size: 64
amdhsa.target:   amdgcn-amd-amdhsa--gfx950
amdhsa.version:
  - 1
  - 2
...

	.end_amdgpu_metadata
